;; amdgpu-corpus repo=ROCm/rocFFT kind=compiled arch=gfx1201 opt=O3
	.text
	.amdgcn_target "amdgcn-amd-amdhsa--gfx1201"
	.amdhsa_code_object_version 6
	.protected	fft_rtc_fwd_len756_factors_2_2_3_3_3_7_wgs_63_tpt_63_sp_ip_CI_sbrr_dirReg ; -- Begin function fft_rtc_fwd_len756_factors_2_2_3_3_3_7_wgs_63_tpt_63_sp_ip_CI_sbrr_dirReg
	.globl	fft_rtc_fwd_len756_factors_2_2_3_3_3_7_wgs_63_tpt_63_sp_ip_CI_sbrr_dirReg
	.p2align	8
	.type	fft_rtc_fwd_len756_factors_2_2_3_3_3_7_wgs_63_tpt_63_sp_ip_CI_sbrr_dirReg,@function
fft_rtc_fwd_len756_factors_2_2_3_3_3_7_wgs_63_tpt_63_sp_ip_CI_sbrr_dirReg: ; @fft_rtc_fwd_len756_factors_2_2_3_3_3_7_wgs_63_tpt_63_sp_ip_CI_sbrr_dirReg
; %bb.0:
	s_clause 0x2
	s_load_b64 s[12:13], s[0:1], 0x18
	s_load_b128 s[4:7], s[0:1], 0x0
	s_load_b64 s[10:11], s[0:1], 0x50
	v_mul_u32_u24_e32 v1, 0x411, v0
	v_mov_b32_e32 v3, 0
	s_delay_alu instid0(VALU_DEP_2) | instskip(NEXT) | instid1(VALU_DEP_1)
	v_lshrrev_b32_e32 v1, 16, v1
	v_add_nc_u32_e32 v5, ttmp9, v1
	v_mov_b32_e32 v1, 0
	v_mov_b32_e32 v2, 0
	;; [unrolled: 1-line block ×3, first 2 shown]
	s_wait_kmcnt 0x0
	s_load_b64 s[8:9], s[12:13], 0x0
	v_cmp_lt_u64_e64 s2, s[6:7], 2
	s_delay_alu instid0(VALU_DEP_1)
	s_and_b32 vcc_lo, exec_lo, s2
	s_cbranch_vccnz .LBB0_8
; %bb.1:
	s_load_b64 s[2:3], s[0:1], 0x10
	v_mov_b32_e32 v1, 0
	v_mov_b32_e32 v2, 0
	s_add_nc_u64 s[14:15], s[12:13], 8
	s_mov_b64 s[16:17], 1
	s_wait_kmcnt 0x0
	s_add_nc_u64 s[18:19], s[2:3], 8
	s_mov_b32 s3, 0
.LBB0_2:                                ; =>This Inner Loop Header: Depth=1
	s_load_b64 s[20:21], s[18:19], 0x0
                                        ; implicit-def: $vgpr7_vgpr8
	s_mov_b32 s2, exec_lo
	s_wait_kmcnt 0x0
	v_or_b32_e32 v4, s21, v6
	s_delay_alu instid0(VALU_DEP_1)
	v_cmpx_ne_u64_e32 0, v[3:4]
	s_wait_alu 0xfffe
	s_xor_b32 s22, exec_lo, s2
	s_cbranch_execz .LBB0_4
; %bb.3:                                ;   in Loop: Header=BB0_2 Depth=1
	s_cvt_f32_u32 s2, s20
	s_cvt_f32_u32 s23, s21
	s_sub_nc_u64 s[26:27], 0, s[20:21]
	s_wait_alu 0xfffe
	s_delay_alu instid0(SALU_CYCLE_1) | instskip(SKIP_1) | instid1(SALU_CYCLE_2)
	s_fmamk_f32 s2, s23, 0x4f800000, s2
	s_wait_alu 0xfffe
	v_s_rcp_f32 s2, s2
	s_delay_alu instid0(TRANS32_DEP_1) | instskip(SKIP_1) | instid1(SALU_CYCLE_2)
	s_mul_f32 s2, s2, 0x5f7ffffc
	s_wait_alu 0xfffe
	s_mul_f32 s23, s2, 0x2f800000
	s_wait_alu 0xfffe
	s_delay_alu instid0(SALU_CYCLE_2) | instskip(SKIP_1) | instid1(SALU_CYCLE_2)
	s_trunc_f32 s23, s23
	s_wait_alu 0xfffe
	s_fmamk_f32 s2, s23, 0xcf800000, s2
	s_cvt_u32_f32 s25, s23
	s_wait_alu 0xfffe
	s_delay_alu instid0(SALU_CYCLE_1) | instskip(SKIP_1) | instid1(SALU_CYCLE_2)
	s_cvt_u32_f32 s24, s2
	s_wait_alu 0xfffe
	s_mul_u64 s[28:29], s[26:27], s[24:25]
	s_wait_alu 0xfffe
	s_mul_hi_u32 s31, s24, s29
	s_mul_i32 s30, s24, s29
	s_mul_hi_u32 s2, s24, s28
	s_mul_i32 s33, s25, s28
	s_wait_alu 0xfffe
	s_add_nc_u64 s[30:31], s[2:3], s[30:31]
	s_mul_hi_u32 s23, s25, s28
	s_mul_hi_u32 s34, s25, s29
	s_add_co_u32 s2, s30, s33
	s_wait_alu 0xfffe
	s_add_co_ci_u32 s2, s31, s23
	s_mul_i32 s28, s25, s29
	s_add_co_ci_u32 s29, s34, 0
	s_wait_alu 0xfffe
	s_add_nc_u64 s[28:29], s[2:3], s[28:29]
	s_wait_alu 0xfffe
	v_add_co_u32 v4, s2, s24, s28
	s_delay_alu instid0(VALU_DEP_1) | instskip(SKIP_1) | instid1(VALU_DEP_1)
	s_cmp_lg_u32 s2, 0
	s_add_co_ci_u32 s25, s25, s29
	v_readfirstlane_b32 s24, v4
	s_wait_alu 0xfffe
	s_delay_alu instid0(VALU_DEP_1)
	s_mul_u64 s[26:27], s[26:27], s[24:25]
	s_wait_alu 0xfffe
	s_mul_hi_u32 s29, s24, s27
	s_mul_i32 s28, s24, s27
	s_mul_hi_u32 s2, s24, s26
	s_mul_i32 s30, s25, s26
	s_wait_alu 0xfffe
	s_add_nc_u64 s[28:29], s[2:3], s[28:29]
	s_mul_hi_u32 s23, s25, s26
	s_mul_hi_u32 s24, s25, s27
	s_wait_alu 0xfffe
	s_add_co_u32 s2, s28, s30
	s_add_co_ci_u32 s2, s29, s23
	s_mul_i32 s26, s25, s27
	s_add_co_ci_u32 s27, s24, 0
	s_wait_alu 0xfffe
	s_add_nc_u64 s[26:27], s[2:3], s[26:27]
	s_wait_alu 0xfffe
	v_add_co_u32 v4, s2, v4, s26
	s_delay_alu instid0(VALU_DEP_1) | instskip(SKIP_1) | instid1(VALU_DEP_1)
	s_cmp_lg_u32 s2, 0
	s_add_co_ci_u32 s2, s25, s27
	v_mul_hi_u32 v13, v5, v4
	s_wait_alu 0xfffe
	v_mad_co_u64_u32 v[7:8], null, v5, s2, 0
	v_mad_co_u64_u32 v[9:10], null, v6, v4, 0
	;; [unrolled: 1-line block ×3, first 2 shown]
	s_delay_alu instid0(VALU_DEP_3) | instskip(SKIP_1) | instid1(VALU_DEP_4)
	v_add_co_u32 v4, vcc_lo, v13, v7
	s_wait_alu 0xfffd
	v_add_co_ci_u32_e32 v7, vcc_lo, 0, v8, vcc_lo
	s_delay_alu instid0(VALU_DEP_2) | instskip(SKIP_1) | instid1(VALU_DEP_2)
	v_add_co_u32 v4, vcc_lo, v4, v9
	s_wait_alu 0xfffd
	v_add_co_ci_u32_e32 v4, vcc_lo, v7, v10, vcc_lo
	s_wait_alu 0xfffd
	v_add_co_ci_u32_e32 v7, vcc_lo, 0, v12, vcc_lo
	s_delay_alu instid0(VALU_DEP_2) | instskip(SKIP_1) | instid1(VALU_DEP_2)
	v_add_co_u32 v4, vcc_lo, v4, v11
	s_wait_alu 0xfffd
	v_add_co_ci_u32_e32 v9, vcc_lo, 0, v7, vcc_lo
	s_delay_alu instid0(VALU_DEP_2) | instskip(SKIP_1) | instid1(VALU_DEP_3)
	v_mul_lo_u32 v10, s21, v4
	v_mad_co_u64_u32 v[7:8], null, s20, v4, 0
	v_mul_lo_u32 v11, s20, v9
	s_delay_alu instid0(VALU_DEP_2) | instskip(NEXT) | instid1(VALU_DEP_2)
	v_sub_co_u32 v7, vcc_lo, v5, v7
	v_add3_u32 v8, v8, v11, v10
	s_delay_alu instid0(VALU_DEP_1) | instskip(SKIP_1) | instid1(VALU_DEP_1)
	v_sub_nc_u32_e32 v10, v6, v8
	s_wait_alu 0xfffd
	v_subrev_co_ci_u32_e64 v10, s2, s21, v10, vcc_lo
	v_add_co_u32 v11, s2, v4, 2
	s_wait_alu 0xf1ff
	v_add_co_ci_u32_e64 v12, s2, 0, v9, s2
	v_sub_co_u32 v13, s2, v7, s20
	v_sub_co_ci_u32_e32 v8, vcc_lo, v6, v8, vcc_lo
	s_wait_alu 0xf1ff
	v_subrev_co_ci_u32_e64 v10, s2, 0, v10, s2
	s_delay_alu instid0(VALU_DEP_3) | instskip(NEXT) | instid1(VALU_DEP_3)
	v_cmp_le_u32_e32 vcc_lo, s20, v13
	v_cmp_eq_u32_e64 s2, s21, v8
	s_wait_alu 0xfffd
	v_cndmask_b32_e64 v13, 0, -1, vcc_lo
	v_cmp_le_u32_e32 vcc_lo, s21, v10
	s_wait_alu 0xfffd
	v_cndmask_b32_e64 v14, 0, -1, vcc_lo
	v_cmp_le_u32_e32 vcc_lo, s20, v7
	;; [unrolled: 3-line block ×3, first 2 shown]
	s_wait_alu 0xfffd
	v_cndmask_b32_e64 v15, 0, -1, vcc_lo
	v_cmp_eq_u32_e32 vcc_lo, s21, v10
	s_wait_alu 0xf1ff
	s_delay_alu instid0(VALU_DEP_2)
	v_cndmask_b32_e64 v7, v15, v7, s2
	s_wait_alu 0xfffd
	v_cndmask_b32_e32 v10, v14, v13, vcc_lo
	v_add_co_u32 v13, vcc_lo, v4, 1
	s_wait_alu 0xfffd
	v_add_co_ci_u32_e32 v14, vcc_lo, 0, v9, vcc_lo
	s_delay_alu instid0(VALU_DEP_3) | instskip(SKIP_2) | instid1(VALU_DEP_3)
	v_cmp_ne_u32_e32 vcc_lo, 0, v10
	s_wait_alu 0xfffd
	v_cndmask_b32_e32 v10, v13, v11, vcc_lo
	v_cndmask_b32_e32 v8, v14, v12, vcc_lo
	v_cmp_ne_u32_e32 vcc_lo, 0, v7
	s_wait_alu 0xfffd
	s_delay_alu instid0(VALU_DEP_2)
	v_dual_cndmask_b32 v7, v4, v10 :: v_dual_cndmask_b32 v8, v9, v8
.LBB0_4:                                ;   in Loop: Header=BB0_2 Depth=1
	s_wait_alu 0xfffe
	s_and_not1_saveexec_b32 s2, s22
	s_cbranch_execz .LBB0_6
; %bb.5:                                ;   in Loop: Header=BB0_2 Depth=1
	v_cvt_f32_u32_e32 v4, s20
	s_sub_co_i32 s22, 0, s20
	s_delay_alu instid0(VALU_DEP_1) | instskip(NEXT) | instid1(TRANS32_DEP_1)
	v_rcp_iflag_f32_e32 v4, v4
	v_mul_f32_e32 v4, 0x4f7ffffe, v4
	s_delay_alu instid0(VALU_DEP_1) | instskip(SKIP_1) | instid1(VALU_DEP_1)
	v_cvt_u32_f32_e32 v4, v4
	s_wait_alu 0xfffe
	v_mul_lo_u32 v7, s22, v4
	s_delay_alu instid0(VALU_DEP_1) | instskip(NEXT) | instid1(VALU_DEP_1)
	v_mul_hi_u32 v7, v4, v7
	v_add_nc_u32_e32 v4, v4, v7
	s_delay_alu instid0(VALU_DEP_1) | instskip(NEXT) | instid1(VALU_DEP_1)
	v_mul_hi_u32 v4, v5, v4
	v_mul_lo_u32 v7, v4, s20
	v_add_nc_u32_e32 v8, 1, v4
	s_delay_alu instid0(VALU_DEP_2) | instskip(NEXT) | instid1(VALU_DEP_1)
	v_sub_nc_u32_e32 v7, v5, v7
	v_subrev_nc_u32_e32 v9, s20, v7
	v_cmp_le_u32_e32 vcc_lo, s20, v7
	s_wait_alu 0xfffd
	s_delay_alu instid0(VALU_DEP_2) | instskip(NEXT) | instid1(VALU_DEP_1)
	v_dual_cndmask_b32 v7, v7, v9 :: v_dual_cndmask_b32 v4, v4, v8
	v_cmp_le_u32_e32 vcc_lo, s20, v7
	s_delay_alu instid0(VALU_DEP_2) | instskip(SKIP_1) | instid1(VALU_DEP_1)
	v_add_nc_u32_e32 v8, 1, v4
	s_wait_alu 0xfffd
	v_dual_cndmask_b32 v7, v4, v8 :: v_dual_mov_b32 v8, v3
.LBB0_6:                                ;   in Loop: Header=BB0_2 Depth=1
	s_wait_alu 0xfffe
	s_or_b32 exec_lo, exec_lo, s2
	s_load_b64 s[22:23], s[14:15], 0x0
	s_delay_alu instid0(VALU_DEP_1)
	v_mul_lo_u32 v4, v8, s20
	v_mul_lo_u32 v11, v7, s21
	v_mad_co_u64_u32 v[9:10], null, v7, s20, 0
	s_add_nc_u64 s[16:17], s[16:17], 1
	s_add_nc_u64 s[14:15], s[14:15], 8
	s_wait_alu 0xfffe
	v_cmp_ge_u64_e64 s2, s[16:17], s[6:7]
	s_add_nc_u64 s[18:19], s[18:19], 8
	s_delay_alu instid0(VALU_DEP_2) | instskip(NEXT) | instid1(VALU_DEP_3)
	v_add3_u32 v4, v10, v11, v4
	v_sub_co_u32 v5, vcc_lo, v5, v9
	s_wait_alu 0xfffd
	s_delay_alu instid0(VALU_DEP_2) | instskip(SKIP_3) | instid1(VALU_DEP_2)
	v_sub_co_ci_u32_e32 v4, vcc_lo, v6, v4, vcc_lo
	s_and_b32 vcc_lo, exec_lo, s2
	s_wait_kmcnt 0x0
	v_mul_lo_u32 v6, s23, v5
	v_mul_lo_u32 v4, s22, v4
	v_mad_co_u64_u32 v[1:2], null, s22, v5, v[1:2]
	s_delay_alu instid0(VALU_DEP_1)
	v_add3_u32 v2, v6, v2, v4
	s_wait_alu 0xfffe
	s_cbranch_vccnz .LBB0_9
; %bb.7:                                ;   in Loop: Header=BB0_2 Depth=1
	v_dual_mov_b32 v5, v7 :: v_dual_mov_b32 v6, v8
	s_branch .LBB0_2
.LBB0_8:
	v_dual_mov_b32 v8, v6 :: v_dual_mov_b32 v7, v5
.LBB0_9:
	s_lshl_b64 s[2:3], s[6:7], 3
	v_mul_hi_u32 v3, 0x4104105, v0
	s_wait_alu 0xfffe
	s_add_nc_u64 s[2:3], s[12:13], s[2:3]
	s_load_b64 s[0:1], s[0:1], 0x20
	s_load_b64 s[2:3], s[2:3], 0x0
                                        ; implicit-def: $vgpr43
	s_delay_alu instid0(VALU_DEP_1) | instskip(NEXT) | instid1(VALU_DEP_1)
	v_mul_u32_u24_e32 v3, 63, v3
	v_sub_nc_u32_e32 v41, v0, v3
	s_delay_alu instid0(VALU_DEP_1)
	v_add_nc_u32_e32 v40, 63, v41
	v_add_nc_u32_e32 v39, 0x7e, v41
	;; [unrolled: 1-line block ×4, first 2 shown]
	s_wait_kmcnt 0x0
	v_cmp_gt_u64_e32 vcc_lo, s[0:1], v[7:8]
	v_mul_lo_u32 v3, s2, v8
	v_mul_lo_u32 v4, s3, v7
	v_mad_co_u64_u32 v[0:1], null, s2, v7, v[1:2]
	v_cmp_le_u64_e64 s0, s[0:1], v[7:8]
	v_add_nc_u32_e32 v36, 0x13b, v41
                                        ; implicit-def: $vgpr2
                                        ; implicit-def: $vgpr8
                                        ; implicit-def: $vgpr7
	s_delay_alu instid0(VALU_DEP_3) | instskip(NEXT) | instid1(VALU_DEP_3)
	v_add3_u32 v1, v4, v1, v3
                                        ; implicit-def: $vgpr3
	s_and_saveexec_b32 s1, s0
	s_wait_alu 0xfffe
	s_xor_b32 s0, exec_lo, s1
; %bb.10:
	v_add_nc_u32_e32 v43, 63, v41
	v_add_nc_u32_e32 v3, 0x7e, v41
	v_add_nc_u32_e32 v2, 0xbd, v41
	v_add_nc_u32_e32 v8, 0xfc, v41
	v_add_nc_u32_e32 v7, 0x13b, v41
; %bb.11:
	s_wait_alu 0xfffe
	s_or_saveexec_b32 s1, s0
	v_lshlrev_b64_e32 v[20:21], 3, v[0:1]
	v_add_nc_u32_e32 v37, 0x17a, v41
	v_add_nc_u32_e32 v34, 0x1b9, v41
	;; [unrolled: 1-line block ×6, first 2 shown]
	s_wait_alu 0xfffe
	s_xor_b32 exec_lo, exec_lo, s1
	s_cbranch_execz .LBB0_13
; %bb.12:
	v_mad_co_u64_u32 v[0:1], null, s8, v41, 0
	v_mad_co_u64_u32 v[2:3], null, s8, v40, 0
	;; [unrolled: 1-line block ×5, first 2 shown]
	s_delay_alu instid0(VALU_DEP_4) | instskip(NEXT) | instid1(VALU_DEP_4)
	v_mad_co_u64_u32 v[8:9], null, s9, v41, v[1:2]
	v_mov_b32_e32 v1, v5
	v_mad_co_u64_u32 v[9:10], null, s9, v40, v[3:4]
	v_mov_b32_e32 v5, v7
	v_add_co_u32 v19, s0, s10, v20
	s_delay_alu instid0(VALU_DEP_4)
	v_mad_co_u64_u32 v[10:11], null, s9, v39, v[1:2]
	v_mov_b32_e32 v1, v8
	v_mov_b32_e32 v3, v9
	v_mad_co_u64_u32 v[7:8], null, s9, v38, v[5:6]
	s_wait_alu 0xf1ff
	v_add_co_ci_u32_e64 v44, s0, s11, v21, s0
	v_lshlrev_b64_e32 v[0:1], 3, v[0:1]
	v_mov_b32_e32 v5, v10
	v_lshlrev_b64_e32 v[2:3], 3, v[2:3]
	v_mad_co_u64_u32 v[8:9], null, s8, v35, 0
	v_lshlrev_b64_e32 v[6:7], 3, v[6:7]
	v_add_co_u32 v0, s0, v19, v0
	v_lshlrev_b64_e32 v[4:5], 3, v[4:5]
	s_wait_alu 0xf1ff
	v_add_co_ci_u32_e64 v1, s0, v44, v1, s0
	v_add_co_u32 v2, s0, v19, v2
	s_wait_alu 0xf1ff
	v_add_co_ci_u32_e64 v3, s0, v44, v3, s0
	v_add_co_u32 v4, s0, v19, v4
	;; [unrolled: 3-line block ×3, first 2 shown]
	s_wait_alu 0xf1ff
	v_add_co_ci_u32_e64 v7, s0, v44, v7, s0
	s_clause 0x3
	global_load_b64 v[0:1], v[0:1], off
	global_load_b64 v[15:16], v[2:3], off
	;; [unrolled: 1-line block ×4, first 2 shown]
	v_mad_co_u64_u32 v[10:11], null, s8, v36, 0
	v_mad_co_u64_u32 v[22:23], null, s8, v33, 0
	;; [unrolled: 1-line block ×3, first 2 shown]
	s_delay_alu instid0(VALU_DEP_3) | instskip(SKIP_1) | instid1(VALU_DEP_2)
	v_mad_co_u64_u32 v[12:13], null, s9, v35, v[9:10]
	v_mad_co_u64_u32 v[13:14], null, s8, v37, 0
	v_mov_b32_e32 v9, v12
	v_mad_co_u64_u32 v[11:12], null, s9, v36, v[11:12]
	s_delay_alu instid0(VALU_DEP_3) | instskip(NEXT) | instid1(VALU_DEP_3)
	v_mov_b32_e32 v2, v14
	v_lshlrev_b64_e32 v[6:7], 3, v[8:9]
	v_mad_co_u64_u32 v[8:9], null, s8, v34, 0
	s_delay_alu instid0(VALU_DEP_3) | instskip(SKIP_1) | instid1(VALU_DEP_4)
	v_mad_co_u64_u32 v[2:3], null, s9, v37, v[2:3]
	v_lshlrev_b64_e32 v[10:11], 3, v[10:11]
	v_add_co_u32 v6, s0, v19, v6
	s_wait_alu 0xf1ff
	v_add_co_ci_u32_e64 v7, s0, v44, v7, s0
	s_delay_alu instid0(VALU_DEP_4) | instskip(NEXT) | instid1(VALU_DEP_4)
	v_dual_mov_b32 v3, v9 :: v_dual_mov_b32 v14, v2
	v_add_co_u32 v10, s0, v19, v10
	s_wait_alu 0xf1ff
	v_add_co_ci_u32_e64 v11, s0, v44, v11, s0
	s_delay_alu instid0(VALU_DEP_3) | instskip(NEXT) | instid1(VALU_DEP_1)
	v_lshlrev_b64_e32 v[12:13], 3, v[13:14]
	v_add_co_u32 v12, s0, v19, v12
	s_wait_alu 0xf1ff
	s_delay_alu instid0(VALU_DEP_2) | instskip(SKIP_3) | instid1(VALU_DEP_2)
	v_add_co_ci_u32_e64 v13, s0, v44, v13, s0
	s_wait_loadcnt 0x1
	v_mad_co_u64_u32 v[2:3], null, s9, v34, v[3:4]
	v_mov_b32_e32 v3, v23
	v_dual_mov_b32 v9, v2 :: v_dual_mov_b32 v2, v25
	s_delay_alu instid0(VALU_DEP_2) | instskip(SKIP_1) | instid1(VALU_DEP_3)
	v_mad_co_u64_u32 v[25:26], null, s9, v33, v[3:4]
	v_mad_co_u64_u32 v[26:27], null, s8, v31, 0
	;; [unrolled: 1-line block ×3, first 2 shown]
	s_delay_alu instid0(VALU_DEP_4) | instskip(NEXT) | instid1(VALU_DEP_4)
	v_lshlrev_b64_e32 v[8:9], 3, v[8:9]
	v_mov_b32_e32 v23, v25
	s_delay_alu instid0(VALU_DEP_4) | instskip(NEXT) | instid1(VALU_DEP_4)
	v_mov_b32_e32 v3, v27
	v_mov_b32_e32 v25, v2
	s_delay_alu instid0(VALU_DEP_3) | instskip(SKIP_1) | instid1(VALU_DEP_4)
	v_lshlrev_b64_e32 v[22:23], 3, v[22:23]
	v_add_co_u32 v8, s0, v19, v8
	v_mad_co_u64_u32 v[2:3], null, s9, v31, v[3:4]
	v_mov_b32_e32 v3, v29
	s_wait_alu 0xf1ff
	v_add_co_ci_u32_e64 v9, s0, v44, v9, s0
	v_lshlrev_b64_e32 v[24:25], 3, v[24:25]
	s_delay_alu instid0(VALU_DEP_3) | instskip(SKIP_4) | instid1(VALU_DEP_3)
	v_mad_co_u64_u32 v[42:43], null, s9, v30, v[3:4]
	v_mov_b32_e32 v27, v2
	v_add_co_u32 v2, s0, v19, v22
	s_wait_alu 0xf1ff
	v_add_co_ci_u32_e64 v3, s0, v44, v23, s0
	v_lshlrev_b64_e32 v[22:23], 3, v[26:27]
	v_mov_b32_e32 v29, v42
	v_add_co_u32 v24, s0, v19, v24
	s_wait_alu 0xf1ff
	v_add_co_ci_u32_e64 v25, s0, v44, v25, s0
	s_delay_alu instid0(VALU_DEP_3) | instskip(SKIP_4) | instid1(VALU_DEP_4)
	v_lshlrev_b64_e32 v[26:27], 3, v[28:29]
	v_add_co_u32 v22, s0, v19, v22
	s_wait_alu 0xf1ff
	v_add_co_ci_u32_e64 v23, s0, v44, v23, s0
	v_mov_b32_e32 v43, v40
	v_add_co_u32 v26, s0, v19, v26
	s_wait_alu 0xf1ff
	v_add_co_ci_u32_e64 v27, s0, v44, v27, s0
	s_clause 0x7
	global_load_b64 v[28:29], v[6:7], off
	global_load_b64 v[10:11], v[10:11], off
	;; [unrolled: 1-line block ×8, first 2 shown]
	v_lshl_add_u32 v6, v41, 3, 0
	v_dual_mov_b32 v7, v36 :: v_dual_mov_b32 v8, v35
	v_dual_mov_b32 v2, v38 :: v_dual_mov_b32 v3, v39
	s_delay_alu instid0(VALU_DEP_3)
	v_add_nc_u32_e32 v42, 0x1000, v6
	v_add_nc_u32_e32 v9, 0x400, v6
	;; [unrolled: 1-line block ×4, first 2 shown]
	ds_store_2addr_b64 v6, v[0:1], v[15:16] offset1:63
	s_wait_loadcnt 0x8
	ds_store_2addr_b64 v6, v[4:5], v[17:18] offset0:126 offset1:189
	s_wait_loadcnt 0x6
	ds_store_2addr_b64 v9, v[28:29], v[10:11] offset0:124 offset1:187
	;; [unrolled: 2-line block ×5, first 2 shown]
.LBB0_13:
	s_or_b32 exec_lo, exec_lo, s1
	v_lshlrev_b32_e32 v0, 3, v41
	global_wb scope:SCOPE_SE
	s_wait_dscnt 0x0
	s_barrier_signal -1
	s_barrier_wait -1
	global_inv scope:SCOPE_SE
	v_add_nc_u32_e32 v42, 0, v0
	v_lshl_add_u32 v19, v7, 4, 0
	v_cmp_gt_u32_e64 s0, 36, v41
	s_delay_alu instid0(VALU_DEP_3)
	v_add_nc_u32_e32 v4, 0x800, v42
	ds_load_2addr_b64 v[9:12], v42 offset1:63
	ds_load_2addr_b64 v[13:16], v4 offset0:122 offset1:185
	ds_load_2addr_b64 v[22:25], v42 offset0:126 offset1:189
	s_wait_dscnt 0x1
	v_sub_f32_e32 v1, v10, v14
	v_add_nc_u32_e32 v6, v42, v0
	v_dual_sub_f32 v0, v9, v13 :: v_dual_sub_f32 v13, v11, v15
	v_add_nc_u32_e32 v44, 0xc00, v42
	v_dual_sub_f32 v14, v12, v16 :: v_dual_add_nc_u32 v45, 0x400, v42
	v_add_nc_u32_e32 v5, 0x1000, v42
	ds_load_2addr_b64 v[26:29], v44 offset0:120 offset1:183
	ds_load_2addr_b64 v[46:49], v45 offset0:124 offset1:187
	;; [unrolled: 1-line block ×3, first 2 shown]
	v_fma_f32 v10, v10, 2.0, -v1
	global_wb scope:SCOPE_SE
	s_wait_dscnt 0x0
	s_barrier_signal -1
	s_barrier_wait -1
	global_inv scope:SCOPE_SE
	v_fma_f32 v11, v11, 2.0, -v13
	v_fma_f32 v12, v12, 2.0, -v14
	v_dual_sub_f32 v16, v23, v27 :: v_dual_sub_f32 v15, v22, v26
	v_fma_f32 v9, v9, 2.0, -v0
	v_dual_sub_f32 v17, v24, v28 :: v_dual_sub_f32 v18, v25, v29
	v_dual_sub_f32 v26, v46, v50 :: v_dual_sub_f32 v27, v47, v51
	v_dual_sub_f32 v28, v48, v52 :: v_dual_sub_f32 v29, v49, v53
	ds_store_2addr_b64 v6, v[9:10], v[0:1] offset1:1
	v_lshl_add_u32 v6, v43, 4, 0
	v_fma_f32 v22, v22, 2.0, -v15
	v_fma_f32 v23, v23, 2.0, -v16
	v_lshl_add_u32 v1, v3, 4, 0
	v_fma_f32 v24, v24, 2.0, -v17
	v_fma_f32 v25, v25, 2.0, -v18
	;; [unrolled: 3-line block ×4, first 2 shown]
	ds_store_2addr_b64 v6, v[11:12], v[13:14] offset1:1
	ds_store_2addr_b64 v1, v[22:23], v[15:16] offset1:1
	;; [unrolled: 1-line block ×5, first 2 shown]
	v_and_b32_e32 v15, 1, v7
	v_and_b32_e32 v11, 1, v41
	global_wb scope:SCOPE_SE
	s_wait_dscnt 0x0
	s_barrier_signal -1
	s_barrier_wait -1
	global_inv scope:SCOPE_SE
	v_lshlrev_b32_e32 v0, 3, v11
	v_and_b32_e32 v13, 1, v2
	v_lshlrev_b32_e32 v24, 1, v8
	v_lshlrev_b32_e32 v50, 3, v2
	global_load_b64 v[17:18], v0, s[4:5]
	v_and_b32_e32 v12, 1, v43
	v_and_or_b32 v24, 0x3fc, v24, v11
	s_delay_alu instid0(VALU_DEP_2) | instskip(NEXT) | instid1(VALU_DEP_2)
	v_lshlrev_b32_e32 v14, 3, v12
	v_lshl_add_u32 v70, v24, 3, 0
	global_load_b64 v[26:27], v14, s[4:5]
	v_lshlrev_b32_e32 v0, 3, v13
	v_lshlrev_b32_e32 v14, 3, v15
	s_clause 0x1
	global_load_b64 v[28:29], v0, s[4:5]
	global_load_b64 v[47:48], v14, s[4:5]
	v_lshlrev_b32_e32 v22, 1, v3
	v_lshlrev_b32_e32 v23, 1, v2
	;; [unrolled: 1-line block ×5, first 2 shown]
	v_and_or_b32 v22, 0x1fc, v22, v11
	v_and_or_b32 v23, 0x1fc, v23, v13
	v_lshlrev_b32_e32 v16, 1, v43
	v_sub_nc_u32_e32 v7, v1, v49
	v_and_or_b32 v49, 0x2fc, v25, v15
	v_lshl_add_u32 v68, v22, 3, 0
	v_lshl_add_u32 v69, v23, 3, 0
	ds_load_2addr_b64 v[22:25], v5 offset0:118 offset1:181
	v_lshlrev_b32_e32 v14, 1, v41
	v_and_or_b32 v16, 0xfc, v16, v12
	v_sub_nc_u32_e32 v1, v9, v50
	v_sub_nc_u32_e32 v19, v19, v51
	v_lshl_add_u32 v71, v49, 3, 0
	v_and_b32_e32 v61, 3, v41
	v_lshl_add_u32 v67, v16, 3, 0
	v_and_b32_e32 v63, 3, v3
	s_wait_loadcnt_dscnt 0x300
	v_mul_f32_e32 v77, v18, v23
	v_and_or_b32 v14, 0x7c, v14, v11
	s_delay_alu instid0(VALU_DEP_1)
	v_lshl_add_u32 v66, v14, 3, 0
	ds_load_2addr_b64 v[13:16], v44 offset0:120 offset1:183
	s_wait_loadcnt 0x0
	v_mul_f32_e32 v78, v48, v25
	v_mul_f32_e32 v48, v48, v24
	s_wait_dscnt 0x0
	v_mul_f32_e32 v74, v18, v14
	v_dual_mul_f32 v75, v18, v13 :: v_dual_mul_f32 v76, v29, v16
	v_mul_f32_e32 v29, v29, v15
	v_lshlrev_b32_e32 v46, 3, v43
	s_delay_alu instid0(VALU_DEP_4) | instskip(NEXT) | instid1(VALU_DEP_4)
	v_fma_f32 v13, v17, v13, -v74
	v_dual_fmac_f32 v75, v17, v14 :: v_dual_lshlrev_b32 v8, 3, v8
	s_delay_alu instid0(VALU_DEP_4) | instskip(NEXT) | instid1(VALU_DEP_4)
	v_fmac_f32_e32 v29, v28, v16
	v_sub_nc_u32_e32 v0, v6, v46
	v_fma_f32 v15, v28, v15, -v76
	s_delay_alu instid0(VALU_DEP_4)
	v_sub_nc_u32_e32 v8, v10, v8
	ds_load_2addr_b64 v[9:12], v4 offset0:122 offset1:185
	ds_load_b64 v[49:50], v42
	ds_load_b64 v[51:52], v0
	;; [unrolled: 1-line block ×6, first 2 shown]
	v_lshlrev_b32_e32 v64, 4, v61
	global_wb scope:SCOPE_SE
	s_wait_dscnt 0x0
	s_barrier_signal -1
	s_barrier_wait -1
	global_inv scope:SCOPE_SE
	v_sub_f32_e32 v13, v53, v13
	v_sub_f32_e32 v15, v55, v15
	v_mul_f32_e32 v19, v18, v10
	v_mul_f32_e32 v72, v18, v9
	v_dual_mul_f32 v18, v18, v22 :: v_dual_mul_f32 v73, v27, v12
	v_mul_f32_e32 v27, v27, v11
	s_delay_alu instid0(VALU_DEP_4)
	v_fma_f32 v9, v17, v9, -v19
	v_fma_f32 v19, v17, v22, -v77
	v_fmac_f32_e32 v72, v17, v10
	v_fmac_f32_e32 v18, v17, v23
	;; [unrolled: 1-line block ×3, first 2 shown]
	v_fma_f32 v11, v26, v11, -v73
	v_sub_f32_e32 v17, v57, v19
	v_dual_fmac_f32 v27, v26, v12 :: v_dual_and_b32 v62, 3, v43
	s_delay_alu instid0(VALU_DEP_4) | instskip(SKIP_2) | instid1(VALU_DEP_4)
	v_sub_f32_e32 v23, v60, v48
	v_fma_f32 v22, v47, v24, -v78
	v_sub_f32_e32 v9, v49, v9
	v_dual_sub_f32 v10, v50, v72 :: v_dual_lshlrev_b32 v65, 4, v62
	v_sub_f32_e32 v11, v51, v11
	v_sub_f32_e32 v12, v52, v27
	;; [unrolled: 1-line block ×6, first 2 shown]
	v_fma_f32 v24, v49, 2.0, -v9
	v_fma_f32 v25, v50, 2.0, -v10
	;; [unrolled: 1-line block ×12, first 2 shown]
	ds_store_2addr_b64 v66, v[24:25], v[9:10] offset1:2
	ds_store_2addr_b64 v67, v[26:27], v[11:12] offset1:2
	;; [unrolled: 1-line block ×6, first 2 shown]
	v_and_b32_e32 v17, 3, v2
	global_wb scope:SCOPE_SE
	s_wait_dscnt 0x0
	s_barrier_signal -1
	s_barrier_wait -1
	global_inv scope:SCOPE_SE
	s_clause 0x1
	global_load_b128 v[9:12], v64, s[4:5] offset:16
	global_load_b128 v[13:16], v65, s[4:5] offset:16
	v_lshlrev_b32_e32 v18, 4, v63
	v_lshlrev_b32_e32 v19, 4, v17
	s_clause 0x1
	global_load_b128 v[22:25], v18, s[4:5] offset:16
	global_load_b128 v[26:29], v19, s[4:5] offset:16
	v_lshrrev_b32_e32 v18, 2, v41
	v_and_b32_e32 v49, 0xff, v41
	v_and_b32_e32 v69, 0xff, v43
	;; [unrolled: 1-line block ×3, first 2 shown]
	v_lshrrev_b32_e32 v47, 2, v3
	v_mul_u32_u24_e32 v18, 12, v18
	v_mul_lo_u16 v49, 0xab, v49
	v_lshrrev_b32_e32 v48, 2, v2
	v_mul_lo_u16 v50, 0xab, v69
	v_mul_lo_u16 v51, 0xab, v70
	v_or_b32_e32 v18, v18, v61
	v_lshrrev_b16 v72, 11, v49
	v_and_b32_e32 v71, 0xff, v2
	v_mul_lo_u32 v47, v47, 12
	v_mul_lo_u32 v48, v48, 12
	v_lshrrev_b16 v73, 11, v50
	v_lshrrev_b16 v74, 11, v51
	v_lshl_add_u32 v76, v18, 3, 0
	v_mul_lo_u16 v18, v72, 12
	v_mul_lo_u16 v52, 0xab, v71
	v_lshrrev_b32_e32 v19, 2, v43
	v_or_b32_e32 v47, v47, v63
	v_or_b32_e32 v17, v48, v17
	v_mul_lo_u16 v48, v73, 12
	v_mul_lo_u16 v49, v74, 12
	v_sub_nc_u16 v51, v41, v18
	v_lshrrev_b16 v75, 11, v52
	v_mul_lo_u32 v19, v19, 12
	v_lshl_add_u32 v77, v47, 3, 0
	v_lshl_add_u32 v78, v17, 3, 0
	v_sub_nc_u16 v55, v43, v48
	ds_load_b64 v[17:18], v8
	v_sub_nc_u16 v60, v3, v49
	ds_load_2addr_b64 v[47:50], v4 offset0:185 offset1:248
	v_and_b32_e32 v79, 0xff, v51
	ds_load_2addr_b64 v[51:54], v4 offset0:59 offset1:122
	v_mul_lo_u16 v59, v75, 12
	v_and_b32_e32 v80, 0xff, v55
	ds_load_2addr_b64 v[55:58], v5 offset0:55 offset1:118
	v_or_b32_e32 v19, v19, v62
	v_and_b32_e32 v82, 0xff, v60
	v_sub_nc_u16 v81, v2, v59
	ds_load_b64 v[59:60], v42
	ds_load_b64 v[61:62], v7
	;; [unrolled: 1-line block ×3, first 2 shown]
	ds_load_b64 v[65:66], v42 offset:5544
	ds_load_b64 v[67:68], v1
	v_lshlrev_b32_e32 v83, 4, v79
	v_lshl_add_u32 v19, v19, 3, 0
	global_wb scope:SCOPE_SE
	s_wait_loadcnt_dscnt 0x0
	s_barrier_signal -1
	s_barrier_wait -1
	global_inv scope:SCOPE_SE
	v_mul_f32_e32 v85, v10, v18
	v_mul_f32_e32 v10, v10, v17
	v_dual_mul_f32 v86, v12, v50 :: v_dual_mul_f32 v87, v14, v52
	v_mul_f32_e32 v14, v14, v51
	s_delay_alu instid0(VALU_DEP_4)
	v_fma_f32 v17, v9, v17, -v85
	v_mul_f32_e32 v89, v23, v54
	v_mul_f32_e32 v23, v23, v53
	v_mul_f32_e32 v12, v12, v49
	v_dual_mul_f32 v91, v48, v27 :: v_dual_lshlrev_b32 v84, 4, v80
	v_dual_mul_f32 v27, v47, v27 :: v_dual_mul_f32 v90, v58, v25
	v_mul_f32_e32 v25, v57, v25
	v_mul_f32_e32 v92, v66, v29
	;; [unrolled: 1-line block ×3, first 2 shown]
	v_fmac_f32_e32 v10, v9, v18
	v_fma_f32 v9, v11, v49, -v86
	v_fmac_f32_e32 v23, v22, v54
	v_fmac_f32_e32 v12, v11, v50
	v_fma_f32 v11, v13, v51, -v87
	v_mul_f32_e32 v88, v16, v56
	v_dual_mul_f32 v16, v16, v55 :: v_dual_fmac_f32 v25, v58, v24
	v_dual_fmac_f32 v14, v13, v52 :: v_dual_fmac_f32 v27, v48, v26
	s_delay_alu instid0(VALU_DEP_3) | instskip(NEXT) | instid1(VALU_DEP_3)
	v_fma_f32 v13, v15, v55, -v88
	v_fmac_f32_e32 v16, v15, v56
	v_fma_f32 v15, v22, v53, -v89
	v_fma_f32 v22, v47, v26, -v91
	v_fmac_f32_e32 v29, v66, v28
	v_fma_f32 v18, v57, v24, -v90
	v_add_f32_e32 v51, v11, v13
	v_dual_add_f32 v55, v61, v15 :: v_dual_add_f32 v26, v59, v17
	v_sub_f32_e32 v47, v10, v12
	v_add_f32_e32 v49, v10, v12
	v_add_f32_e32 v53, v64, v14
	v_fma_f32 v24, v65, v28, -v92
	v_add_f32_e32 v28, v17, v9
	v_dual_sub_f32 v50, v17, v9 :: v_dual_sub_f32 v65, v15, v18
	v_add_f32_e32 v9, v26, v9
	v_sub_f32_e32 v52, v14, v16
	v_add_f32_e32 v14, v14, v16
	v_dual_add_f32 v48, v60, v10 :: v_dual_sub_f32 v57, v23, v25
	v_add_f32_e32 v17, v63, v11
	v_add_f32_e32 v56, v15, v18
	v_dual_add_f32 v58, v62, v23 :: v_dual_sub_f32 v85, v27, v29
	v_add_f32_e32 v23, v23, v25
	v_dual_add_f32 v15, v67, v22 :: v_dual_add_f32 v66, v22, v24
	v_dual_add_f32 v86, v68, v27 :: v_dual_add_f32 v27, v27, v29
	v_fma_f32 v59, -0.5, v28, v59
	s_delay_alu instid0(VALU_DEP_3)
	v_dual_fmac_f32 v60, -0.5, v49 :: v_dual_add_f32 v15, v15, v24
	v_dual_sub_f32 v54, v11, v13 :: v_dual_sub_f32 v87, v22, v24
	v_fma_f32 v63, -0.5, v51, v63
	v_dual_fmac_f32 v64, -0.5, v14 :: v_dual_add_f32 v11, v17, v13
	v_fma_f32 v61, -0.5, v56, v61
	v_fmac_f32_e32 v62, -0.5, v23
	v_dual_add_f32 v10, v48, v12 :: v_dual_fmamk_f32 v17, v47, 0x3f5db3d7, v59
	v_add_f32_e32 v13, v55, v18
	v_fma_f32 v67, -0.5, v66, v67
	v_fmac_f32_e32 v68, -0.5, v27
	v_fmamk_f32 v18, v50, 0xbf5db3d7, v60
	v_dual_add_f32 v12, v53, v16 :: v_dual_fmac_f32 v59, 0xbf5db3d7, v47
	v_fmac_f32_e32 v60, 0x3f5db3d7, v50
	v_fmamk_f32 v22, v52, 0x3f5db3d7, v63
	v_fmac_f32_e32 v63, 0xbf5db3d7, v52
	v_fmamk_f32 v23, v54, 0xbf5db3d7, v64
	;; [unrolled: 2-line block ×3, first 2 shown]
	v_fmac_f32_e32 v61, 0xbf5db3d7, v57
	v_dual_add_f32 v14, v58, v25 :: v_dual_fmamk_f32 v25, v65, 0xbf5db3d7, v62
	v_fmac_f32_e32 v62, 0x3f5db3d7, v65
	v_fmamk_f32 v26, v85, 0x3f5db3d7, v67
	v_fmac_f32_e32 v67, 0xbf5db3d7, v85
	v_dual_add_f32 v16, v86, v29 :: v_dual_fmamk_f32 v27, v87, 0xbf5db3d7, v68
	v_dual_fmac_f32 v68, 0x3f5db3d7, v87 :: v_dual_lshlrev_b32 v65, 3, v82
	ds_store_2addr_b64 v76, v[9:10], v[17:18] offset1:4
	ds_store_b64 v76, v[59:60] offset:64
	ds_store_2addr_b64 v19, v[11:12], v[22:23] offset1:4
	ds_store_b64 v19, v[63:64] offset:64
	;; [unrolled: 2-line block ×4, first 2 shown]
	global_wb scope:SCOPE_SE
	s_wait_dscnt 0x0
	s_barrier_signal -1
	s_barrier_wait -1
	global_inv scope:SCOPE_SE
	s_clause 0x1
	global_load_b128 v[9:12], v83, s[4:5] offset:80
	global_load_b128 v[13:16], v84, s[4:5] offset:80
	v_and_b32_e32 v19, 0xff, v81
	v_lshlrev_b32_e32 v17, 4, v82
	v_mul_lo_u16 v49, v71, 57
	v_mul_lo_u16 v48, v70, 57
	;; [unrolled: 1-line block ×3, first 2 shown]
	v_lshlrev_b32_e32 v18, 4, v19
	s_clause 0x1
	global_load_b128 v[22:25], v17, s[4:5] offset:80
	global_load_b128 v[26:29], v18, s[4:5] offset:80
	v_mov_b32_e32 v18, 0
	v_subrev_nc_u32_e32 v17, 36, v41
	v_lshrrev_b16 v71, 11, v49
	v_lshrrev_b16 v70, 11, v48
	v_and_b32_e32 v48, 0xffff, v73
	v_lshrrev_b16 v69, 11, v47
	s_wait_alu 0xf1ff
	v_cndmask_b32_e64 v76, v17, v41, s0
	v_mul_lo_u16 v53, v71, 36
	v_mul_lo_u16 v52, v70, 36
	v_and_b32_e32 v47, 0xffff, v72
	v_mul_u32_u24_e32 v60, 0x120, v48
	v_lshlrev_b32_e32 v17, 1, v76
	v_sub_nc_u16 v72, v2, v53
	v_sub_nc_u16 v48, v3, v52
	v_mul_lo_u16 v51, v69, 36
	ds_load_2addr_b64 v[55:58], v5 offset0:55 offset1:118
	v_lshlrev_b64_e32 v[17:18], 3, v[17:18]
	v_lshlrev_b32_e32 v64, 3, v80
	v_lshlrev_b32_e32 v63, 3, v79
	;; [unrolled: 1-line block ×3, first 2 shown]
	s_delay_alu instid0(VALU_DEP_4)
	v_add_co_u32 v2, s0, s4, v17
	s_wait_alu 0xf1ff
	v_add_co_ci_u32_e64 v3, s0, s5, v18, s0
	ds_load_b64 v[17:18], v8
	v_and_b32_e32 v49, 0xffff, v74
	v_and_b32_e32 v74, 0xff, v48
	v_cmp_lt_u32_e64 s0, 35, v41
	s_wait_loadcnt_dscnt 0x300
	v_mul_f32_e32 v80, v10, v18
	v_mul_u32_u24_e32 v59, 0x120, v47
	v_sub_nc_u16 v47, v43, v51
	ds_load_2addr_b64 v[51:54], v4 offset0:59 offset1:122
	v_and_b32_e32 v50, 0xffff, v75
	v_mul_f32_e32 v10, v10, v17
	v_mul_u32_u24_e32 v61, 0x120, v49
	v_and_b32_e32 v73, 0xff, v47
	v_add3_u32 v77, 0, v59, v63
	s_wait_loadcnt 0x2
	v_mul_f32_e32 v83, v16, v56
	s_wait_loadcnt 0x1
	v_mul_f32_e32 v85, v58, v25
	v_mul_f32_e32 v25, v57, v25
	v_add3_u32 v78, 0, v60, v64
	v_add3_u32 v79, 0, v61, v65
	v_fma_f32 v17, v9, v17, -v80
	s_wait_dscnt 0x0
	v_dual_fmac_f32 v25, v58, v24 :: v_dual_mul_f32 v84, v23, v54
	v_mul_f32_e32 v23, v23, v53
	v_mul_u32_u24_e32 v62, 0x120, v50
	ds_load_2addr_b64 v[47:50], v4 offset0:185 offset1:248
	v_fmac_f32_e32 v23, v22, v54
	v_add3_u32 v19, 0, v62, v19
	ds_load_b64 v[59:60], v42
	ds_load_b64 v[61:62], v7
	;; [unrolled: 1-line block ×3, first 2 shown]
	ds_load_b64 v[65:66], v42 offset:5544
	ds_load_b64 v[67:68], v1
	v_mul_f32_e32 v82, v14, v52
	v_mul_f32_e32 v16, v16, v55
	global_wb scope:SCOPE_SE
	s_wait_loadcnt_dscnt 0x0
	s_barrier_signal -1
	s_barrier_wait -1
	global_inv scope:SCOPE_SE
	v_mul_f32_e32 v81, v12, v50
	v_mul_f32_e32 v12, v12, v49
	;; [unrolled: 1-line block ×7, first 2 shown]
	v_fmac_f32_e32 v10, v9, v18
	v_fma_f32 v9, v11, v49, -v81
	v_fmac_f32_e32 v12, v11, v50
	v_fma_f32 v11, v13, v51, -v82
	v_dual_fmac_f32 v27, v48, v26 :: v_dual_fmac_f32 v14, v13, v52
	v_fma_f32 v13, v15, v55, -v83
	v_fmac_f32_e32 v16, v15, v56
	v_fma_f32 v15, v22, v53, -v84
	v_fma_f32 v18, v57, v24, -v85
	;; [unrolled: 1-line block ×4, first 2 shown]
	v_fmac_f32_e32 v29, v66, v28
	v_add_f32_e32 v55, v61, v15
	v_dual_add_f32 v28, v17, v9 :: v_dual_add_f32 v49, v10, v12
	v_dual_add_f32 v26, v59, v17 :: v_dual_sub_f32 v47, v10, v12
	v_dual_add_f32 v48, v60, v10 :: v_dual_add_f32 v51, v11, v13
	v_dual_sub_f32 v50, v17, v9 :: v_dual_sub_f32 v65, v15, v18
	v_add_f32_e32 v17, v63, v11
	v_dual_add_f32 v53, v64, v14 :: v_dual_sub_f32 v52, v14, v16
	v_dual_sub_f32 v57, v23, v25 :: v_dual_add_f32 v14, v14, v16
	v_dual_add_f32 v56, v15, v18 :: v_dual_add_f32 v9, v26, v9
	v_dual_add_f32 v58, v62, v23 :: v_dual_add_f32 v15, v67, v22
	v_add_f32_e32 v23, v23, v25
	v_dual_sub_f32 v54, v11, v13 :: v_dual_add_f32 v81, v68, v27
	v_add_f32_e32 v66, v22, v24
	v_fma_f32 v59, -0.5, v28, v59
	v_sub_f32_e32 v80, v27, v29
	v_add_f32_e32 v27, v27, v29
	v_dual_fmac_f32 v60, -0.5, v49 :: v_dual_add_f32 v15, v15, v24
	v_fma_f32 v63, -0.5, v51, v63
	v_fmac_f32_e32 v64, -0.5, v14
	v_fma_f32 v61, -0.5, v56, v61
	v_dual_fmac_f32 v62, -0.5, v23 :: v_dual_lshlrev_b32 v75, 4, v73
	v_dual_sub_f32 v82, v22, v24 :: v_dual_add_f32 v11, v17, v13
	v_dual_add_f32 v10, v48, v12 :: v_dual_add_f32 v13, v55, v18
	v_dual_add_f32 v12, v53, v16 :: v_dual_fmamk_f32 v17, v47, 0x3f5db3d7, v59
	v_fma_f32 v67, -0.5, v66, v67
	v_fmac_f32_e32 v59, 0xbf5db3d7, v47
	v_fmac_f32_e32 v68, -0.5, v27
	v_fmamk_f32 v18, v50, 0xbf5db3d7, v60
	v_fmac_f32_e32 v60, 0x3f5db3d7, v50
	v_fmamk_f32 v22, v52, 0x3f5db3d7, v63
	v_dual_fmac_f32 v63, 0xbf5db3d7, v52 :: v_dual_add_f32 v16, v81, v29
	v_fmamk_f32 v23, v54, 0xbf5db3d7, v64
	v_fmac_f32_e32 v64, 0x3f5db3d7, v54
	v_dual_fmamk_f32 v24, v57, 0x3f5db3d7, v61 :: v_dual_lshlrev_b32 v29, 3, v74
	v_fmac_f32_e32 v61, 0xbf5db3d7, v57
	v_dual_add_f32 v14, v58, v25 :: v_dual_fmamk_f32 v25, v65, 0xbf5db3d7, v62
	v_fmac_f32_e32 v62, 0x3f5db3d7, v65
	v_fmamk_f32 v26, v80, 0x3f5db3d7, v67
	v_fmac_f32_e32 v67, 0xbf5db3d7, v80
	v_fmamk_f32 v27, v82, 0xbf5db3d7, v68
	v_fmac_f32_e32 v68, 0x3f5db3d7, v82
	ds_store_2addr_b64 v77, v[9:10], v[17:18] offset1:12
	ds_store_b64 v77, v[59:60] offset:192
	ds_store_2addr_b64 v78, v[11:12], v[22:23] offset1:12
	ds_store_b64 v78, v[63:64] offset:192
	;; [unrolled: 2-line block ×4, first 2 shown]
	global_wb scope:SCOPE_SE
	s_wait_dscnt 0x0
	s_barrier_signal -1
	s_barrier_wait -1
	global_inv scope:SCOPE_SE
	s_clause 0x1
	global_load_b128 v[9:12], v[2:3], off offset:272
	global_load_b128 v[13:16], v75, s[4:5] offset:272
	v_and_b32_e32 v2, 0xff, v72
	v_lshlrev_b32_e32 v3, 4, v74
	s_wait_alu 0xf1ff
	v_cndmask_b32_e64 v19, 0, 0x360, s0
	v_lshlrev_b32_e32 v22, 3, v76
	v_cmp_gt_u32_e64 s0, 45, v41
	v_lshlrev_b32_e32 v17, 4, v2
	s_clause 0x1
	global_load_b128 v[24:27], v3, s[4:5] offset:272
	global_load_b128 v[47:50], v17, s[4:5] offset:272
	ds_load_2addr_b64 v[55:58], v4 offset0:59 offset1:122
	ds_load_2addr_b64 v[51:54], v4 offset0:185 offset1:248
	v_and_b32_e32 v17, 0xffff, v70
	ds_load_2addr_b64 v[59:62], v5 offset0:55 offset1:118
	v_lshlrev_b32_e32 v2, 3, v2
	v_add3_u32 v19, 0, v19, v22
	v_mul_u32_u24_e32 v23, 0x360, v17
	s_delay_alu instid0(VALU_DEP_1)
	v_add3_u32 v66, 0, v23, v29
	s_wait_loadcnt_dscnt 0x102
	v_mul_f32_e32 v70, v25, v58
	v_dual_mul_f32 v25, v25, v57 :: v_dual_and_b32 v18, 0xffff, v71
	s_wait_dscnt 0x0
	v_mul_f32_e32 v71, v62, v27
	v_mul_f32_e32 v27, v61, v27
	s_delay_alu instid0(VALU_DEP_3)
	v_fmac_f32_e32 v25, v24, v58
	v_mul_u32_u24_e32 v28, 0x360, v18
	ds_load_b64 v[17:18], v8
	v_and_b32_e32 v3, 0xffff, v69
	v_dual_mul_f32 v69, v16, v60 :: v_dual_lshlrev_b32 v8, 3, v73
	v_add3_u32 v67, 0, v28, v2
	v_dual_mul_f32 v16, v16, v59 :: v_dual_fmac_f32 v27, v62, v26
	s_delay_alu instid0(VALU_DEP_4) | instskip(NEXT) | instid1(VALU_DEP_1)
	v_mul_u32_u24_e32 v3, 0x360, v3
	v_add3_u32 v65, 0, v3, v8
	ds_load_b64 v[28:29], v42
	ds_load_b64 v[22:23], v7
	;; [unrolled: 1-line block ×3, first 2 shown]
	ds_load_b64 v[63:64], v42 offset:5544
	ds_load_b64 v[2:3], v1
	v_mul_f32_e32 v68, v14, v56
	global_wb scope:SCOPE_SE
	s_wait_loadcnt_dscnt 0x0
	s_barrier_signal -1
	s_barrier_wait -1
	global_inv scope:SCOPE_SE
	v_mul_f32_e32 v1, v10, v17
	v_mul_f32_e32 v0, v10, v18
	s_delay_alu instid0(VALU_DEP_2) | instskip(SKIP_2) | instid1(VALU_DEP_4)
	v_fmac_f32_e32 v1, v9, v18
	v_mul_f32_e32 v10, v12, v54
	v_mul_f32_e32 v12, v12, v53
	v_fma_f32 v0, v9, v17, -v0
	v_mul_f32_e32 v73, v64, v50
	v_mul_f32_e32 v50, v63, v50
	s_delay_alu instid0(VALU_DEP_4) | instskip(SKIP_1) | instid1(VALU_DEP_4)
	v_fmac_f32_e32 v12, v11, v54
	v_mul_f32_e32 v14, v14, v55
	v_fma_f32 v18, v63, v49, -v73
	s_delay_alu instid0(VALU_DEP_4)
	v_fmac_f32_e32 v50, v64, v49
	v_add_f32_e32 v49, v29, v1
	v_fma_f32 v9, v11, v53, -v10
	v_fma_f32 v10, v13, v55, -v68
	v_fma_f32 v11, v15, v59, -v69
	v_mul_f32_e32 v72, v52, v48
	v_fmac_f32_e32 v16, v15, v60
	v_fma_f32 v15, v61, v26, -v71
	s_delay_alu instid0(VALU_DEP_4) | instskip(NEXT) | instid1(VALU_DEP_4)
	v_dual_mul_f32 v48, v51, v48 :: v_dual_sub_f32 v55, v10, v11
	v_fma_f32 v17, v51, v47, -v72
	v_add_f32_e32 v51, v7, v10
	s_delay_alu instid0(VALU_DEP_3) | instskip(SKIP_1) | instid1(VALU_DEP_4)
	v_dual_add_f32 v59, v23, v25 :: v_dual_fmac_f32 v48, v52, v47
	v_add_f32_e32 v52, v10, v11
	v_add_f32_e32 v61, v2, v17
	v_sub_f32_e32 v47, v1, v12
	v_add_f32_e32 v1, v1, v12
	v_dual_fmac_f32 v14, v13, v56 :: v_dual_add_f32 v11, v51, v11
	v_sub_f32_e32 v68, v17, v18
	s_delay_alu instid0(VALU_DEP_3) | instskip(SKIP_1) | instid1(VALU_DEP_4)
	v_dual_add_f32 v10, v49, v12 :: v_dual_fmac_f32 v29, -0.5, v1
	v_sub_f32_e32 v63, v48, v50
	v_dual_sub_f32 v53, v14, v16 :: v_dual_sub_f32 v58, v25, v27
	v_add_f32_e32 v25, v25, v27
	v_fma_f32 v13, v24, v57, -v70
	s_delay_alu instid0(VALU_DEP_2) | instskip(SKIP_2) | instid1(VALU_DEP_4)
	v_dual_add_f32 v24, v28, v0 :: v_dual_fmac_f32 v23, -0.5, v25
	v_add_f32_e32 v64, v3, v48
	v_add_f32_e32 v48, v48, v50
	v_dual_add_f32 v26, v0, v9 :: v_dual_add_f32 v57, v13, v15
	s_delay_alu instid0(VALU_DEP_2) | instskip(NEXT) | instid1(VALU_DEP_2)
	v_dual_fmac_f32 v3, -0.5, v48 :: v_dual_sub_f32 v60, v13, v15
	v_fma_f32 v28, -0.5, v26, v28
	v_sub_f32_e32 v0, v0, v9
	v_add_f32_e32 v9, v24, v9
	v_fma_f32 v7, -0.5, v52, v7
	v_add_f32_e32 v56, v22, v13
	v_dual_add_f32 v62, v17, v18 :: v_dual_fmamk_f32 v1, v68, 0xbf5db3d7, v3
	v_fmamk_f32 v25, v60, 0xbf5db3d7, v23
	s_delay_alu instid0(VALU_DEP_4) | instskip(NEXT) | instid1(VALU_DEP_4)
	v_fmamk_f32 v17, v53, 0x3f5db3d7, v7
	v_add_f32_e32 v13, v56, v15
	v_dual_fmamk_f32 v15, v47, 0x3f5db3d7, v28 :: v_dual_add_f32 v54, v8, v14
	v_add_f32_e32 v14, v14, v16
	v_fma_f32 v22, -0.5, v57, v22
	v_fma_f32 v2, -0.5, v62, v2
	v_fmac_f32_e32 v28, 0xbf5db3d7, v47
	v_add_f32_e32 v12, v54, v16
	v_dual_fmac_f32 v8, -0.5, v14 :: v_dual_fmac_f32 v3, 0x3f5db3d7, v68
	v_fmamk_f32 v16, v0, 0xbf5db3d7, v29
	v_dual_fmac_f32 v29, 0x3f5db3d7, v0 :: v_dual_add_f32 v26, v61, v18
	s_delay_alu instid0(VALU_DEP_3)
	v_dual_fmamk_f32 v18, v55, 0xbf5db3d7, v8 :: v_dual_fmac_f32 v7, 0xbf5db3d7, v53
	v_fmac_f32_e32 v8, 0x3f5db3d7, v55
	v_add_f32_e32 v14, v59, v27
	v_dual_fmamk_f32 v24, v58, 0x3f5db3d7, v22 :: v_dual_add_f32 v27, v64, v50
	v_fmac_f32_e32 v22, 0xbf5db3d7, v58
	v_dual_fmac_f32 v23, 0x3f5db3d7, v60 :: v_dual_fmamk_f32 v0, v63, 0x3f5db3d7, v2
	v_fmac_f32_e32 v2, 0xbf5db3d7, v63
	ds_store_2addr_b64 v19, v[9:10], v[15:16] offset1:36
	ds_store_b64 v19, v[28:29] offset:576
	ds_store_2addr_b64 v65, v[11:12], v[17:18] offset1:36
	ds_store_b64 v65, v[7:8] offset:576
	;; [unrolled: 2-line block ×4, first 2 shown]
	global_wb scope:SCOPE_SE
	s_wait_dscnt 0x0
	s_barrier_signal -1
	s_barrier_wait -1
	global_inv scope:SCOPE_SE
	ds_load_2addr_b64 v[8:11], v42 offset1:108
	ds_load_2addr_b64 v[16:19], v45 offset0:88 offset1:196
	ds_load_2addr_b64 v[12:15], v44 offset0:48 offset1:156
	ds_load_b64 v[28:29], v42 offset:5184
                                        ; implicit-def: $vgpr7
	s_and_saveexec_b32 s1, s0
	s_cbranch_execz .LBB0_15
; %bb.14:
	v_sub_nc_u32_e32 v0, 0, v46
	s_delay_alu instid0(VALU_DEP_1)
	v_add_nc_u32_e32 v6, v6, v0
	ds_load_2addr_b32 v[26:27], v4 offset0:46 offset1:47
	ds_load_2addr_b64 v[0:3], v4 offset0:131 offset1:239
	ds_load_b64 v[24:25], v6
	ds_load_b64 v[22:23], v42 offset:1368
	ds_load_2addr_b64 v[4:7], v5 offset0:91 offset1:199
.LBB0_15:
	s_wait_alu 0xfffe
	s_or_b32 exec_lo, exec_lo, s1
	v_mul_u32_u24_e32 v46, 6, v41
	s_delay_alu instid0(VALU_DEP_1)
	v_lshlrev_b32_e32 v54, 3, v46
	s_clause 0x2
	global_load_b128 v[46:49], v54, s[4:5] offset:848
	global_load_b128 v[50:53], v54, s[4:5] offset:864
	;; [unrolled: 1-line block ×3, first 2 shown]
	global_wb scope:SCOPE_SE
	s_wait_loadcnt_dscnt 0x0
	s_barrier_signal -1
	s_barrier_wait -1
	global_inv scope:SCOPE_SE
	v_dual_mul_f32 v59, v49, v17 :: v_dual_mul_f32 v60, v51, v19
	v_dual_mul_f32 v61, v53, v13 :: v_dual_mul_f32 v58, v47, v11
	v_mul_f32_e32 v49, v49, v16
	v_dual_mul_f32 v53, v53, v12 :: v_dual_mul_f32 v62, v55, v15
	s_delay_alu instid0(VALU_DEP_3) | instskip(SKIP_2) | instid1(VALU_DEP_4)
	v_fma_f32 v12, v52, v12, -v61
	v_mul_f32_e32 v63, v57, v29
	v_mul_f32_e32 v55, v55, v14
	v_fmac_f32_e32 v53, v52, v13
	v_fmac_f32_e32 v49, v48, v17
	v_fma_f32 v13, v54, v14, -v62
	v_fma_f32 v17, v56, v28, -v63
	v_mul_f32_e32 v47, v47, v10
	v_fma_f32 v10, v46, v10, -v58
	s_delay_alu instid0(VALU_DEP_1) | instskip(SKIP_1) | instid1(VALU_DEP_4)
	v_dual_mul_f32 v51, v51, v18 :: v_dual_add_f32 v14, v10, v17
	v_sub_f32_e32 v10, v10, v17
	v_fmac_f32_e32 v47, v46, v11
	v_fma_f32 v11, v48, v16, -v59
	v_mul_f32_e32 v57, v57, v28
	v_fma_f32 v16, v50, v18, -v60
	s_delay_alu instid0(VALU_DEP_3) | instskip(NEXT) | instid1(VALU_DEP_3)
	v_add_f32_e32 v18, v11, v13
	v_fmac_f32_e32 v57, v56, v29
	s_delay_alu instid0(VALU_DEP_3) | instskip(SKIP_1) | instid1(VALU_DEP_4)
	v_dual_add_f32 v28, v16, v12 :: v_dual_sub_f32 v11, v11, v13
	v_sub_f32_e32 v12, v12, v16
	v_add_f32_e32 v46, v18, v14
	v_fmac_f32_e32 v55, v54, v15
	v_sub_f32_e32 v48, v18, v14
	v_dual_sub_f32 v18, v28, v18 :: v_dual_sub_f32 v17, v47, v57
	v_fmac_f32_e32 v51, v50, v19
	v_dual_add_f32 v15, v47, v57 :: v_dual_sub_f32 v14, v14, v28
	v_add_f32_e32 v50, v12, v11
	s_delay_alu instid0(VALU_DEP_3)
	v_dual_sub_f32 v52, v12, v11 :: v_dual_add_f32 v29, v51, v53
	v_sub_f32_e32 v16, v53, v51
	v_dual_add_f32 v28, v28, v46 :: v_dual_add_f32 v19, v49, v55
	v_dual_sub_f32 v12, v10, v12 :: v_dual_sub_f32 v13, v49, v55
	v_mul_f32_e32 v14, 0x3f4a47b2, v14
	v_sub_f32_e32 v11, v11, v10
	s_delay_alu instid0(VALU_DEP_4)
	v_dual_add_f32 v47, v19, v15 :: v_dual_mul_f32 v46, 0x3d64c772, v18
	v_dual_sub_f32 v49, v19, v15 :: v_dual_add_f32 v10, v50, v10
	v_dual_mul_f32 v50, 0xbf08b237, v52 :: v_dual_sub_f32 v19, v29, v19
	v_add_f32_e32 v8, v28, v8
	v_dual_add_f32 v51, v16, v13 :: v_dual_fmamk_f32 v18, v18, 0x3d64c772, v14
	v_fma_f32 v46, 0x3f3bfb3b, v48, -v46
	v_fma_f32 v14, 0xbf3bfb3b, v48, -v14
	v_dual_fmamk_f32 v48, v12, 0x3eae86e6, v50 :: v_dual_sub_f32 v15, v15, v29
	v_mul_f32_e32 v52, 0x3f5ff5aa, v11
	v_fma_f32 v50, 0x3f5ff5aa, v11, -v50
	v_add_f32_e32 v29, v29, v47
	v_fmamk_f32 v11, v28, 0xbf955555, v8
	v_fmac_f32_e32 v48, 0x3ee1c552, v10
	v_fma_f32 v52, 0xbeae86e6, v12, -v52
	s_delay_alu instid0(VALU_DEP_4)
	v_dual_fmac_f32 v50, 0x3ee1c552, v10 :: v_dual_add_f32 v9, v29, v9
	v_sub_f32_e32 v53, v16, v13
	v_sub_f32_e32 v13, v13, v17
	v_dual_sub_f32 v16, v17, v16 :: v_dual_add_f32 v17, v51, v17
	v_fmac_f32_e32 v52, 0x3ee1c552, v10
	v_fmamk_f32 v12, v29, 0xbf955555, v9
	v_dual_mul_f32 v51, 0xbf08b237, v53 :: v_dual_add_f32 v28, v18, v11
	v_mul_f32_e32 v53, 0x3f5ff5aa, v13
	v_mul_f32_e32 v15, 0x3f4a47b2, v15
	v_add_f32_e32 v18, v14, v11
	s_delay_alu instid0(VALU_DEP_3) | instskip(NEXT) | instid1(VALU_DEP_1)
	v_fma_f32 v53, 0xbeae86e6, v16, -v53
	v_fmac_f32_e32 v53, 0x3ee1c552, v17
	v_mul_f32_e32 v47, 0x3d64c772, v19
	v_fmamk_f32 v19, v19, 0x3d64c772, v15
	v_fma_f32 v15, 0xbf3bfb3b, v49, -v15
	s_delay_alu instid0(VALU_DEP_3) | instskip(SKIP_2) | instid1(VALU_DEP_1)
	v_fma_f32 v47, 0x3f3bfb3b, v49, -v47
	v_fmamk_f32 v49, v16, 0x3eae86e6, v51
	v_fma_f32 v51, 0x3f5ff5aa, v13, -v51
	v_dual_add_f32 v16, v46, v11 :: v_dual_fmac_f32 v51, 0x3ee1c552, v17
	s_delay_alu instid0(VALU_DEP_1) | instskip(NEXT) | instid1(VALU_DEP_4)
	v_sub_f32_e32 v14, v16, v51
	v_dual_add_f32 v16, v51, v16 :: v_dual_fmac_f32 v49, 0x3ee1c552, v17
	v_add_f32_e32 v29, v19, v12
	v_add_f32_e32 v19, v15, v12
	v_dual_add_f32 v17, v47, v12 :: v_dual_add_f32 v12, v53, v18
	s_delay_alu instid0(VALU_DEP_4) | instskip(NEXT) | instid1(VALU_DEP_4)
	v_add_f32_e32 v10, v49, v28
	v_dual_sub_f32 v28, v28, v49 :: v_dual_sub_f32 v11, v29, v48
	s_delay_alu instid0(VALU_DEP_4) | instskip(NEXT) | instid1(VALU_DEP_4)
	v_sub_f32_e32 v13, v19, v52
	v_add_f32_e32 v15, v50, v17
	v_dual_sub_f32 v17, v17, v50 :: v_dual_sub_f32 v18, v18, v53
	v_add_f32_e32 v19, v52, v19
	v_add_f32_e32 v29, v48, v29
	ds_store_2addr_b64 v42, v[8:9], v[10:11] offset1:108
	ds_store_2addr_b64 v45, v[12:13], v[14:15] offset0:88 offset1:196
	ds_store_2addr_b64 v44, v[16:17], v[18:19] offset0:48 offset1:156
	ds_store_b64 v42, v[28:29] offset:5184
	s_and_saveexec_b32 s1, s0
	s_cbranch_execz .LBB0_17
; %bb.16:
	v_subrev_nc_u32_e32 v8, 45, v41
	v_dual_mov_b32 v9, 0 :: v_dual_add_nc_u32 v28, 0x800, v42
	s_delay_alu instid0(VALU_DEP_2) | instskip(NEXT) | instid1(VALU_DEP_1)
	v_cndmask_b32_e64 v8, v8, v43, s0
	v_mul_i32_i24_e32 v8, 6, v8
	s_delay_alu instid0(VALU_DEP_1) | instskip(NEXT) | instid1(VALU_DEP_1)
	v_lshlrev_b64_e32 v[8:9], 3, v[8:9]
	v_add_co_u32 v16, s0, s4, v8
	s_wait_alu 0xf1ff
	s_delay_alu instid0(VALU_DEP_2)
	v_add_co_ci_u32_e64 v17, s0, s5, v9, s0
	s_clause 0x2
	global_load_b128 v[8:11], v[16:17], off offset:848
	global_load_b128 v[12:15], v[16:17], off offset:880
	;; [unrolled: 1-line block ×3, first 2 shown]
	v_add_nc_u32_e32 v29, 0xc00, v42
	s_wait_loadcnt 0x1
	v_dual_mul_f32 v47, v27, v11 :: v_dual_mul_f32 v48, v5, v13
	v_mul_f32_e32 v44, v7, v15
	v_mul_f32_e32 v11, v26, v11
	s_wait_loadcnt 0x0
	v_dual_mul_f32 v45, v3, v19 :: v_dual_mul_f32 v46, v1, v17
	v_fma_f32 v26, v26, v10, -v47
	v_mul_f32_e32 v13, v4, v13
	v_mul_f32_e32 v19, v2, v19
	v_fmac_f32_e32 v11, v27, v10
	v_fma_f32 v2, v2, v18, -v45
	v_fma_f32 v4, v4, v12, -v48
	v_fmac_f32_e32 v13, v5, v12
	v_mul_f32_e32 v15, v6, v15
	v_fma_f32 v6, v6, v14, -v44
	v_mul_f32_e32 v17, v0, v17
	v_fmac_f32_e32 v19, v3, v18
	v_fma_f32 v0, v0, v16, -v46
	s_delay_alu instid0(VALU_DEP_3) | instskip(SKIP_2) | instid1(VALU_DEP_4)
	v_dual_add_f32 v10, v11, v13 :: v_dual_fmac_f32 v17, v1, v16
	v_mul_f32_e32 v43, v23, v9
	v_mul_f32_e32 v9, v22, v9
	v_dual_sub_f32 v3, v2, v0 :: v_dual_add_f32 v0, v0, v2
	v_add_f32_e32 v2, v26, v4
	s_delay_alu instid0(VALU_DEP_4) | instskip(NEXT) | instid1(VALU_DEP_2)
	v_fma_f32 v22, v22, v8, -v43
	v_dual_fmac_f32 v9, v23, v8 :: v_dual_sub_f32 v18, v0, v2
	s_delay_alu instid0(VALU_DEP_2) | instskip(SKIP_3) | instid1(VALU_DEP_4)
	v_sub_f32_e32 v1, v22, v6
	v_fmac_f32_e32 v15, v7, v14
	v_sub_f32_e32 v5, v26, v4
	v_add_f32_e32 v6, v22, v6
	v_sub_f32_e32 v12, v1, v3
	s_delay_alu instid0(VALU_DEP_4) | instskip(NEXT) | instid1(VALU_DEP_1)
	v_add_f32_e32 v7, v9, v15
	v_add_f32_e32 v16, v10, v7
	v_dual_sub_f32 v4, v9, v15 :: v_dual_sub_f32 v9, v19, v17
	s_delay_alu instid0(VALU_DEP_1) | instskip(SKIP_3) | instid1(VALU_DEP_3)
	v_sub_f32_e32 v22, v4, v9
	v_dual_add_f32 v8, v17, v19 :: v_dual_add_f32 v19, v2, v6
	v_dual_sub_f32 v2, v2, v6 :: v_dual_sub_f32 v11, v11, v13
	v_sub_f32_e32 v17, v6, v0
	v_dual_sub_f32 v14, v7, v8 :: v_dual_sub_f32 v15, v8, v10
	s_delay_alu instid0(VALU_DEP_3) | instskip(SKIP_1) | instid1(VALU_DEP_3)
	v_dual_add_f32 v8, v8, v16 :: v_dual_sub_f32 v23, v9, v11
	v_dual_add_f32 v9, v9, v11 :: v_dual_sub_f32 v6, v11, v4
	v_dual_mul_f32 v11, 0x3f4a47b2, v14 :: v_dual_mul_f32 v14, 0x3f4a47b2, v17
	v_add_f32_e32 v17, v0, v19
	s_delay_alu instid0(VALU_DEP_4) | instskip(SKIP_1) | instid1(VALU_DEP_4)
	v_mul_f32_e32 v19, 0xbf08b237, v23
	v_dual_mul_f32 v16, 0x3d64c772, v18 :: v_dual_sub_f32 v13, v3, v5
	v_dual_fmamk_f32 v18, v18, 0x3d64c772, v14 :: v_dual_add_f32 v3, v3, v5
	v_dual_add_f32 v4, v9, v4 :: v_dual_mul_f32 v23, 0x3f5ff5aa, v6
	s_delay_alu instid0(VALU_DEP_4) | instskip(SKIP_3) | instid1(VALU_DEP_4)
	v_fma_f32 v6, 0x3f5ff5aa, v6, -v19
	v_dual_add_f32 v0, v24, v17 :: v_dual_sub_f32 v7, v10, v7
	v_mul_f32_e32 v10, 0xbf08b237, v13
	v_dual_fmamk_f32 v24, v22, 0x3eae86e6, v19 :: v_dual_add_f32 v3, v3, v1
	v_dual_fmac_f32 v6, 0x3ee1c552, v4 :: v_dual_sub_f32 v5, v5, v1
	s_delay_alu instid0(VALU_DEP_3) | instskip(NEXT) | instid1(VALU_DEP_3)
	v_dual_fmamk_f32 v26, v12, 0x3eae86e6, v10 :: v_dual_add_f32 v1, v25, v8
	v_fmac_f32_e32 v24, 0x3ee1c552, v4
	s_delay_alu instid0(VALU_DEP_3) | instskip(NEXT) | instid1(VALU_DEP_3)
	v_fma_f32 v10, 0x3f5ff5aa, v5, -v10
	v_fmac_f32_e32 v26, 0x3ee1c552, v3
	s_delay_alu instid0(VALU_DEP_2) | instskip(SKIP_4) | instid1(VALU_DEP_4)
	v_fmac_f32_e32 v10, 0x3ee1c552, v3
	v_mul_f32_e32 v9, 0x3f5ff5aa, v5
	v_dual_fmamk_f32 v5, v8, 0xbf955555, v1 :: v_dual_fmamk_f32 v8, v17, 0xbf955555, v0
	v_mul_f32_e32 v13, 0x3d64c772, v15
	v_fmamk_f32 v15, v15, 0x3d64c772, v11
	v_fma_f32 v12, 0xbeae86e6, v12, -v9
	v_fma_f32 v9, 0xbf3bfb3b, v7, -v11
	;; [unrolled: 1-line block ×5, first 2 shown]
	s_delay_alu instid0(VALU_DEP_3) | instskip(NEXT) | instid1(VALU_DEP_3)
	v_dual_fmac_f32 v12, 0x3ee1c552, v3 :: v_dual_add_f32 v17, v11, v8
	v_add_f32_e32 v2, v2, v8
	v_fma_f32 v7, 0x3f3bfb3b, v7, -v13
	v_add_f32_e32 v13, v15, v5
	v_add_f32_e32 v15, v18, v8
	v_fmac_f32_e32 v14, 0x3ee1c552, v4
	v_sub_f32_e32 v8, v2, v6
	v_add_f32_e32 v6, v6, v2
	s_delay_alu instid0(VALU_DEP_4) | instskip(SKIP_3) | instid1(VALU_DEP_3)
	v_dual_add_f32 v3, v26, v13 :: v_dual_sub_f32 v2, v15, v24
	v_add_f32_e32 v16, v9, v5
	v_add_f32_e32 v9, v7, v5
	v_sub_f32_e32 v13, v13, v26
	v_dual_sub_f32 v4, v17, v14 :: v_dual_add_f32 v5, v12, v16
	v_sub_f32_e32 v11, v16, v12
	s_delay_alu instid0(VALU_DEP_4)
	v_dual_add_f32 v12, v24, v15 :: v_dual_sub_f32 v7, v9, v10
	v_add_f32_e32 v9, v10, v9
	v_add_f32_e32 v10, v14, v17
	ds_store_2addr_b64 v42, v[0:1], v[12:13] offset0:63 offset1:171
	ds_store_2addr_b64 v28, v[10:11], v[8:9] offset0:23 offset1:131
	;; [unrolled: 1-line block ×3, first 2 shown]
	ds_store_b64 v42, v[2:3] offset:5688
.LBB0_17:
	s_wait_alu 0xfffe
	s_or_b32 exec_lo, exec_lo, s1
	global_wb scope:SCOPE_SE
	s_wait_dscnt 0x0
	s_barrier_signal -1
	s_barrier_wait -1
	global_inv scope:SCOPE_SE
	s_and_saveexec_b32 s0, vcc_lo
	s_cbranch_execz .LBB0_19
; %bb.18:
	v_mad_co_u64_u32 v[4:5], null, s8, v41, 0
	v_mad_co_u64_u32 v[6:7], null, s8, v40, 0
	;; [unrolled: 1-line block ×3, first 2 shown]
	ds_load_2addr_b64 v[0:3], v42 offset1:63
	v_add_co_u32 v23, vcc_lo, s10, v20
	s_wait_alu 0xfffd
	v_add_co_ci_u32_e32 v24, vcc_lo, s11, v21, vcc_lo
	v_mad_co_u64_u32 v[10:11], null, s9, v41, v[5:6]
	v_mad_co_u64_u32 v[13:14], null, s9, v40, v[7:8]
	;; [unrolled: 1-line block ×3, first 2 shown]
	v_mov_b32_e32 v7, v9
	v_mad_co_u64_u32 v[11:12], null, s8, v38, 0
	v_mov_b32_e32 v5, v10
	v_mad_co_u64_u32 v[21:22], null, s8, v32, 0
	s_delay_alu instid0(VALU_DEP_4) | instskip(NEXT) | instid1(VALU_DEP_3)
	v_mad_co_u64_u32 v[16:17], null, s9, v39, v[7:8]
	v_lshlrev_b64_e32 v[4:5], 3, v[4:5]
	v_mov_b32_e32 v7, v13
	v_mov_b32_e32 v9, v12
	s_delay_alu instid0(VALU_DEP_3) | instskip(NEXT) | instid1(VALU_DEP_3)
	v_add_co_u32 v4, vcc_lo, v23, v4
	v_lshlrev_b64_e32 v[6:7], 3, v[6:7]
	s_wait_alu 0xfffd
	v_add_co_ci_u32_e32 v5, vcc_lo, v24, v5, vcc_lo
	v_mad_co_u64_u32 v[12:13], null, s9, v38, v[9:10]
	v_mov_b32_e32 v9, v16
	s_wait_dscnt 0x0
	global_store_b64 v[4:5], v[0:1], off
	v_add_co_u32 v0, vcc_lo, v23, v6
	s_wait_alu 0xfffd
	v_add_co_ci_u32_e32 v1, vcc_lo, v24, v7, vcc_lo
	ds_load_2addr_b64 v[4:7], v42 offset0:126 offset1:189
	v_lshlrev_b64_e32 v[8:9], 3, v[8:9]
	v_mad_co_u64_u32 v[16:17], null, s8, v36, 0
	global_store_b64 v[0:1], v[2:3], off
	v_mov_b32_e32 v0, v15
	v_add_co_u32 v1, vcc_lo, v23, v8
	s_wait_alu 0xfffd
	v_add_co_ci_u32_e32 v2, vcc_lo, v24, v9, vcc_lo
	v_mov_b32_e32 v3, v17
	v_lshlrev_b64_e32 v[8:9], 3, v[11:12]
	v_mad_co_u64_u32 v[10:11], null, s9, v35, v[0:1]
	v_add_nc_u32_e32 v0, 0x400, v42
	s_delay_alu instid0(VALU_DEP_3)
	v_add_co_u32 v8, vcc_lo, v23, v8
	s_wait_dscnt 0x0
	v_mad_co_u64_u32 v[11:12], null, s9, v36, v[3:4]
	v_mad_co_u64_u32 v[12:13], null, s8, v37, 0
	s_wait_alu 0xfffd
	v_add_co_ci_u32_e32 v9, vcc_lo, v24, v9, vcc_lo
	v_mov_b32_e32 v15, v10
	global_store_b64 v[1:2], v[4:5], off
	v_mov_b32_e32 v17, v11
	global_store_b64 v[8:9], v[6:7], off
	v_mov_b32_e32 v4, v13
	v_lshlrev_b64_e32 v[5:6], 3, v[14:15]
	v_mad_co_u64_u32 v[14:15], null, s8, v34, 0
	ds_load_2addr_b64 v[0:3], v0 offset0:124 offset1:187
	v_lshlrev_b64_e32 v[8:9], 3, v[16:17]
	v_mad_co_u64_u32 v[10:11], null, s9, v37, v[4:5]
	v_add_nc_u32_e32 v4, 0x800, v42
	v_add_co_u32 v16, vcc_lo, v23, v5
	s_wait_alu 0xfffd
	v_add_co_ci_u32_e32 v17, vcc_lo, v24, v6, vcc_lo
	ds_load_2addr_b64 v[4:7], v4 offset0:122 offset1:185
	v_dual_mov_b32 v13, v10 :: v_dual_mov_b32 v10, v15
	v_add_co_u32 v8, vcc_lo, v23, v8
	s_wait_alu 0xfffd
	v_add_co_ci_u32_e32 v9, vcc_lo, v24, v9, vcc_lo
	s_delay_alu instid0(VALU_DEP_3)
	v_lshlrev_b64_e32 v[11:12], 3, v[12:13]
	s_wait_dscnt 0x1
	s_clause 0x1
	global_store_b64 v[16:17], v[0:1], off
	global_store_b64 v[8:9], v[2:3], off
	v_mov_b32_e32 v3, v22
	v_mad_co_u64_u32 v[16:17], null, s8, v30, 0
	v_mad_co_u64_u32 v[18:19], null, s9, v34, v[10:11]
	;; [unrolled: 1-line block ×3, first 2 shown]
	v_add_co_u32 v10, vcc_lo, v23, v11
	s_wait_alu 0xfffd
	v_add_co_ci_u32_e32 v11, vcc_lo, v24, v12, vcc_lo
	s_delay_alu instid0(VALU_DEP_4)
	v_mov_b32_e32 v15, v18
	v_mad_co_u64_u32 v[12:13], null, s8, v31, 0
	v_mov_b32_e32 v0, v20
	s_wait_dscnt 0x0
	global_store_b64 v[10:11], v[4:5], off
	v_lshlrev_b64_e32 v[1:2], 3, v[14:15]
	s_delay_alu instid0(VALU_DEP_1) | instskip(SKIP_3) | instid1(VALU_DEP_4)
	v_mad_co_u64_u32 v[4:5], null, s9, v33, v[0:1]
	v_add_co_u32 v14, vcc_lo, v23, v1
	v_dual_mov_b32 v0, v13 :: v_dual_add_nc_u32 v1, 0xc00, v42
	s_wait_alu 0xfffd
	v_add_co_ci_u32_e32 v15, vcc_lo, v24, v2, vcc_lo
	s_delay_alu instid0(VALU_DEP_4)
	v_mad_co_u64_u32 v[8:9], null, s9, v32, v[3:4]
	v_mov_b32_e32 v20, v4
	v_mad_co_u64_u32 v[4:5], null, s9, v31, v[0:1]
	v_mov_b32_e32 v5, v17
	ds_load_2addr_b64 v[0:3], v1 offset0:120 offset1:183
	v_lshlrev_b64_e32 v[17:18], 3, v[19:20]
	v_mov_b32_e32 v22, v8
	v_dual_mov_b32 v13, v4 :: v_dual_add_nc_u32 v8, 0x1000, v42
	s_delay_alu instid0(VALU_DEP_2)
	v_lshlrev_b64_e32 v[19:20], 3, v[21:22]
	v_mad_co_u64_u32 v[21:22], null, s9, v30, v[5:6]
	ds_load_2addr_b64 v[8:11], v8 offset0:118 offset1:181
	v_add_co_u32 v4, vcc_lo, v23, v17
	v_lshlrev_b64_e32 v[12:13], 3, v[12:13]
	s_wait_alu 0xfffd
	v_add_co_ci_u32_e32 v5, vcc_lo, v24, v18, vcc_lo
	v_mov_b32_e32 v17, v21
	v_add_co_u32 v18, vcc_lo, v23, v19
	s_wait_alu 0xfffd
	v_add_co_ci_u32_e32 v19, vcc_lo, v24, v20, vcc_lo
	s_delay_alu instid0(VALU_DEP_3) | instskip(SKIP_3) | instid1(VALU_DEP_3)
	v_lshlrev_b64_e32 v[16:17], 3, v[16:17]
	v_add_co_u32 v12, vcc_lo, v23, v12
	s_wait_alu 0xfffd
	v_add_co_ci_u32_e32 v13, vcc_lo, v24, v13, vcc_lo
	v_add_co_u32 v16, vcc_lo, v23, v16
	s_wait_alu 0xfffd
	v_add_co_ci_u32_e32 v17, vcc_lo, v24, v17, vcc_lo
	global_store_b64 v[14:15], v[6:7], off
	s_wait_dscnt 0x1
	s_clause 0x1
	global_store_b64 v[4:5], v[0:1], off
	global_store_b64 v[18:19], v[2:3], off
	s_wait_dscnt 0x0
	s_clause 0x1
	global_store_b64 v[12:13], v[8:9], off
	global_store_b64 v[16:17], v[10:11], off
.LBB0_19:
	s_nop 0
	s_sendmsg sendmsg(MSG_DEALLOC_VGPRS)
	s_endpgm
	.section	.rodata,"a",@progbits
	.p2align	6, 0x0
	.amdhsa_kernel fft_rtc_fwd_len756_factors_2_2_3_3_3_7_wgs_63_tpt_63_sp_ip_CI_sbrr_dirReg
		.amdhsa_group_segment_fixed_size 0
		.amdhsa_private_segment_fixed_size 0
		.amdhsa_kernarg_size 88
		.amdhsa_user_sgpr_count 2
		.amdhsa_user_sgpr_dispatch_ptr 0
		.amdhsa_user_sgpr_queue_ptr 0
		.amdhsa_user_sgpr_kernarg_segment_ptr 1
		.amdhsa_user_sgpr_dispatch_id 0
		.amdhsa_user_sgpr_private_segment_size 0
		.amdhsa_wavefront_size32 1
		.amdhsa_uses_dynamic_stack 0
		.amdhsa_enable_private_segment 0
		.amdhsa_system_sgpr_workgroup_id_x 1
		.amdhsa_system_sgpr_workgroup_id_y 0
		.amdhsa_system_sgpr_workgroup_id_z 0
		.amdhsa_system_sgpr_workgroup_info 0
		.amdhsa_system_vgpr_workitem_id 0
		.amdhsa_next_free_vgpr 93
		.amdhsa_next_free_sgpr 35
		.amdhsa_reserve_vcc 1
		.amdhsa_float_round_mode_32 0
		.amdhsa_float_round_mode_16_64 0
		.amdhsa_float_denorm_mode_32 3
		.amdhsa_float_denorm_mode_16_64 3
		.amdhsa_fp16_overflow 0
		.amdhsa_workgroup_processor_mode 1
		.amdhsa_memory_ordered 1
		.amdhsa_forward_progress 0
		.amdhsa_round_robin_scheduling 0
		.amdhsa_exception_fp_ieee_invalid_op 0
		.amdhsa_exception_fp_denorm_src 0
		.amdhsa_exception_fp_ieee_div_zero 0
		.amdhsa_exception_fp_ieee_overflow 0
		.amdhsa_exception_fp_ieee_underflow 0
		.amdhsa_exception_fp_ieee_inexact 0
		.amdhsa_exception_int_div_zero 0
	.end_amdhsa_kernel
	.text
.Lfunc_end0:
	.size	fft_rtc_fwd_len756_factors_2_2_3_3_3_7_wgs_63_tpt_63_sp_ip_CI_sbrr_dirReg, .Lfunc_end0-fft_rtc_fwd_len756_factors_2_2_3_3_3_7_wgs_63_tpt_63_sp_ip_CI_sbrr_dirReg
                                        ; -- End function
	.section	.AMDGPU.csdata,"",@progbits
; Kernel info:
; codeLenInByte = 9144
; NumSgprs: 37
; NumVgprs: 93
; ScratchSize: 0
; MemoryBound: 0
; FloatMode: 240
; IeeeMode: 1
; LDSByteSize: 0 bytes/workgroup (compile time only)
; SGPRBlocks: 4
; VGPRBlocks: 11
; NumSGPRsForWavesPerEU: 37
; NumVGPRsForWavesPerEU: 93
; Occupancy: 16
; WaveLimiterHint : 1
; COMPUTE_PGM_RSRC2:SCRATCH_EN: 0
; COMPUTE_PGM_RSRC2:USER_SGPR: 2
; COMPUTE_PGM_RSRC2:TRAP_HANDLER: 0
; COMPUTE_PGM_RSRC2:TGID_X_EN: 1
; COMPUTE_PGM_RSRC2:TGID_Y_EN: 0
; COMPUTE_PGM_RSRC2:TGID_Z_EN: 0
; COMPUTE_PGM_RSRC2:TIDIG_COMP_CNT: 0
	.text
	.p2alignl 7, 3214868480
	.fill 96, 4, 3214868480
	.type	__hip_cuid_bec22d3a8bfac666,@object ; @__hip_cuid_bec22d3a8bfac666
	.section	.bss,"aw",@nobits
	.globl	__hip_cuid_bec22d3a8bfac666
__hip_cuid_bec22d3a8bfac666:
	.byte	0                               ; 0x0
	.size	__hip_cuid_bec22d3a8bfac666, 1

	.ident	"AMD clang version 19.0.0git (https://github.com/RadeonOpenCompute/llvm-project roc-6.4.0 25133 c7fe45cf4b819c5991fe208aaa96edf142730f1d)"
	.section	".note.GNU-stack","",@progbits
	.addrsig
	.addrsig_sym __hip_cuid_bec22d3a8bfac666
	.amdgpu_metadata
---
amdhsa.kernels:
  - .args:
      - .actual_access:  read_only
        .address_space:  global
        .offset:         0
        .size:           8
        .value_kind:     global_buffer
      - .offset:         8
        .size:           8
        .value_kind:     by_value
      - .actual_access:  read_only
        .address_space:  global
        .offset:         16
        .size:           8
        .value_kind:     global_buffer
      - .actual_access:  read_only
        .address_space:  global
        .offset:         24
        .size:           8
        .value_kind:     global_buffer
      - .offset:         32
        .size:           8
        .value_kind:     by_value
      - .actual_access:  read_only
        .address_space:  global
        .offset:         40
        .size:           8
        .value_kind:     global_buffer
      - .actual_access:  read_only
        .address_space:  global
        .offset:         48
        .size:           8
        .value_kind:     global_buffer
      - .offset:         56
        .size:           4
        .value_kind:     by_value
      - .actual_access:  read_only
        .address_space:  global
        .offset:         64
        .size:           8
        .value_kind:     global_buffer
      - .actual_access:  read_only
        .address_space:  global
        .offset:         72
        .size:           8
        .value_kind:     global_buffer
      - .address_space:  global
        .offset:         80
        .size:           8
        .value_kind:     global_buffer
    .group_segment_fixed_size: 0
    .kernarg_segment_align: 8
    .kernarg_segment_size: 88
    .language:       OpenCL C
    .language_version:
      - 2
      - 0
    .max_flat_workgroup_size: 63
    .name:           fft_rtc_fwd_len756_factors_2_2_3_3_3_7_wgs_63_tpt_63_sp_ip_CI_sbrr_dirReg
    .private_segment_fixed_size: 0
    .sgpr_count:     37
    .sgpr_spill_count: 0
    .symbol:         fft_rtc_fwd_len756_factors_2_2_3_3_3_7_wgs_63_tpt_63_sp_ip_CI_sbrr_dirReg.kd
    .uniform_work_group_size: 1
    .uses_dynamic_stack: false
    .vgpr_count:     93
    .vgpr_spill_count: 0
    .wavefront_size: 32
    .workgroup_processor_mode: 1
amdhsa.target:   amdgcn-amd-amdhsa--gfx1201
amdhsa.version:
  - 1
  - 2
...

	.end_amdgpu_metadata
